;; amdgpu-corpus repo=ROCm/rocFFT kind=compiled arch=gfx950 opt=O3
	.text
	.amdgcn_target "amdgcn-amd-amdhsa--gfx950"
	.amdhsa_code_object_version 6
	.protected	fft_rtc_back_len343_factors_7_7_7_wgs_245_tpt_49_sp_op_CI_CI_sbrc_xy_z_diag_dirReg ; -- Begin function fft_rtc_back_len343_factors_7_7_7_wgs_245_tpt_49_sp_op_CI_CI_sbrc_xy_z_diag_dirReg
	.globl	fft_rtc_back_len343_factors_7_7_7_wgs_245_tpt_49_sp_op_CI_CI_sbrc_xy_z_diag_dirReg
	.p2align	8
	.type	fft_rtc_back_len343_factors_7_7_7_wgs_245_tpt_49_sp_op_CI_CI_sbrc_xy_z_diag_dirReg,@function
fft_rtc_back_len343_factors_7_7_7_wgs_245_tpt_49_sp_op_CI_CI_sbrc_xy_z_diag_dirReg: ; @fft_rtc_back_len343_factors_7_7_7_wgs_245_tpt_49_sp_op_CI_CI_sbrc_xy_z_diag_dirReg
; %bb.0:
	s_load_dwordx8 s[4:11], s[0:1], 0x0
	s_mov_b32 s17, 0
	s_movk_i32 s25, 0x157
	s_mov_b32 s24, 0x3f3bfb3b
	s_waitcnt lgkmcnt(0)
	s_load_dwordx4 s[12:15], s[8:9], 0x8
	s_waitcnt lgkmcnt(0)
	s_add_i32 s3, s14, -1
	s_mul_hi_u32 s3, s3, 0xcccccccd
	s_lshr_b32 s3, s3, 2
	s_add_i32 s3, s3, 1
	s_mul_i32 s8, s3, s12
	v_cvt_f32_u32_e32 v1, s8
	s_load_dwordx4 s[12:15], s[10:11], 0x0
	s_load_dword s3, s[10:11], 0x10
	s_sub_i32 s9, 0, s8
	v_rcp_iflag_f32_e32 v1, v1
	s_nop 0
	v_mul_f32_e32 v1, 0x4f7ffffe, v1
	v_cvt_u32_f32_e32 v1, v1
	s_waitcnt lgkmcnt(0)
	v_readfirstlane_b32 s15, v1
	s_mul_i32 s9, s9, s15
	s_mul_hi_u32 s9, s15, s9
	s_add_i32 s15, s15, s9
	s_mul_hi_u32 s9, s2, s15
	s_mul_i32 s15, s9, s8
	s_sub_i32 s15, s2, s15
	s_add_i32 s16, s9, 1
	s_sub_i32 s18, s15, s8
	s_cmp_ge_u32 s15, s8
	s_cselect_b32 s9, s16, s9
	s_cselect_b32 s15, s18, s15
	s_add_i32 s16, s9, 1
	s_cmp_ge_u32 s15, s8
	s_cselect_b32 s28, s16, s9
	s_lshl_b64 s[20:21], s[6:7], 3
	s_mul_i32 s6, s28, s8
	s_sub_i32 s2, s2, s6
	s_mul_hi_u32 s6, s2, 0x5397829d
	s_lshr_b32 s6, s6, 4
	s_mul_i32 s7, s6, 49
	s_sub_i32 s2, s2, s7
	s_add_i32 s7, s6, s2
	s_mul_i32 s6, s2, 5
	s_mul_hi_u32 s2, s7, 0xbf112a8b
	s_lshr_b32 s2, s2, 8
	s_mulk_i32 s2, 0x157
	s_sub_i32 s7, s7, s2
	s_mul_i32 s8, s6, s3
	s_mul_i32 s2, s7, s14
	s_add_i32 s16, s2, s8
	s_add_u32 s14, s10, s20
	s_addc_u32 s15, s11, s21
	s_load_dwordx2 s[22:23], s[14:15], 0x0
	s_load_dwordx4 s[8:11], s[0:1], 0x58
	s_load_dwordx2 s[18:19], s[0:1], 0x20
	v_mad_u64_u32 v[2:3], s[0:1], s12, v0, 0
	s_waitcnt lgkmcnt(0)
	s_mul_i32 s0, s23, s28
	s_mul_hi_u32 s1, s22, s28
	s_add_i32 s1, s1, s0
	s_add_u32 s14, s18, s20
	s_addc_u32 s15, s19, s21
	s_load_dwordx2 s[14:15], s[14:15], 0x0
	s_mul_i32 s0, s22, s28
	s_lshl_b64 s[0:1], s[0:1], 3
	v_mov_b32_e32 v4, v3
	v_mad_u64_u32 v[4:5], s[20:21], s13, v0, v[4:5]
	s_waitcnt lgkmcnt(0)
	s_mul_i32 s2, s15, s28
	s_mul_hi_u32 s15, s14, s28
	s_add_i32 s15, s15, s2
	s_add_u32 s2, s8, s0
	s_addc_u32 s8, s9, s1
	s_lshl_b64 s[0:1], s[16:17], 3
	s_add_u32 s0, s2, s0
	v_mov_b32_e32 v3, v4
	s_addc_u32 s1, s8, s1
	v_add_u16_e32 v1, 0xf5, v0
	v_lshl_add_u64 v[4:5], v[2:3], 3, s[0:1]
	v_mul_u32_u24_e32 v2, 0x17f, v1
	v_lshrrev_b32_e32 v22, 17, v2
	v_mul_lo_u16_e32 v2, 0x157, v22
	v_sub_u16_e32 v1, v1, v2
	v_mad_u64_u32 v[6:7], s[8:9], s12, v1, 0
	v_mov_b32_e32 v3, 0
	v_mov_b32_e32 v2, v7
	v_mad_u64_u32 v[8:9], s[8:9], s13, v1, v[2:3]
	v_mov_b32_e32 v7, v8
	v_mul_lo_u32 v2, s3, v22
	v_lshl_add_u64 v[6:7], v[6:7], 3, s[0:1]
	s_mov_b32 s2, 0x2df01ea
	v_lshl_add_u64 v[6:7], v[2:3], 3, v[6:7]
	v_pk_add_u16 v2, v0, s2 op_sel_hi:[0,1]
	v_and_b32_e32 v8, 0x3ff, v2
	s_movk_i32 s2, 0x5f9
	v_mul_u32_u24_e32 v8, 0x5f9, v8
	v_lshrrev_b32_e32 v12, 19, v8
	v_mul_u32_u24_sdwa v8, v2, s2 dst_sel:DWORD dst_unused:UNUSED_PAD src0_sel:WORD_1 src1_sel:DWORD
	v_lshrrev_b32_e32 v14, 19, v8
	s_mov_b32 s2, 0x5040100
	v_perm_b32 v23, v14, v12, s2
	v_pk_mul_lo_u16 v8, v23, s25 op_sel_hi:[1,0]
	v_mad_legacy_u16 v1, v1, 5, v22
	v_pk_sub_i16 v24, v2, v8
	v_lshl_add_u32 v1, v1, 3, 0
	v_and_b32_e32 v10, 0xffff, v24
	v_mad_u64_u32 v[8:9], s[8:9], s12, v10, 0
	v_mov_b32_e32 v2, v9
	v_mad_u64_u32 v[10:11], s[8:9], s13, v10, v[2:3]
	v_mov_b32_e32 v9, v10
	v_mul_lo_u32 v2, s3, v12
	v_lshrrev_b32_e32 v12, 16, v24
	v_lshl_add_u64 v[8:9], v[8:9], 3, s[0:1]
	v_mad_u64_u32 v[10:11], s[8:9], s12, v12, 0
	v_lshl_add_u64 v[8:9], v[2:3], 3, v[8:9]
	v_mov_b32_e32 v2, v11
	v_mad_u64_u32 v[12:13], s[8:9], s13, v12, v[2:3]
	v_mov_b32_e32 v11, v12
	v_mul_lo_u32 v2, s3, v14
	v_lshl_add_u64 v[10:11], v[10:11], 3, s[0:1]
	s_mov_b32 s8, 0x4c903d4
	v_lshl_add_u64 v[10:11], v[2:3], 3, v[10:11]
	v_pk_add_u16 v2, v0, s8 op_sel_hi:[0,1]
	global_load_dwordx2 v[12:13], v[4:5], off
	global_load_dwordx2 v[14:15], v[6:7], off
	;; [unrolled: 1-line block ×4, first 2 shown]
	v_and_b32_e32 v4, 0x7ff, v2
	v_mul_u32_u24_e32 v4, 0x5f9, v4
	s_movk_i32 s8, 0x17e3
	v_lshrrev_b32_e32 v8, 19, v4
	v_mul_u32_u24_sdwa v4, v2, s8 dst_sel:DWORD dst_unused:UNUSED_PAD src0_sel:WORD_1 src1_sel:DWORD
	v_lshrrev_b32_e32 v10, 21, v4
	v_perm_b32 v25, v10, v8, s2
	v_pk_mul_lo_u16 v4, v25, s25 op_sel_hi:[1,0]
	s_mov_b32 s22, 0xbeae86e6
	v_pk_sub_i16 v26, v2, v4
                                        ; kill: killed $sgpr18 killed $sgpr19
	s_mov_b32 s23, 0x3f08b237
	v_and_b32_e32 v6, 0xffff, v26
	v_mad_u64_u32 v[4:5], s[8:9], s12, v6, 0
	v_mov_b32_e32 v2, v5
	v_mad_u64_u32 v[6:7], s[8:9], s13, v6, v[2:3]
	v_mov_b32_e32 v5, v6
	v_mul_lo_u32 v2, s3, v8
	v_lshrrev_b32_e32 v8, 16, v26
	v_lshl_add_u64 v[4:5], v[4:5], 3, s[0:1]
	v_mad_u64_u32 v[6:7], s[8:9], s12, v8, 0
	v_lshl_add_u64 v[4:5], v[2:3], 3, v[4:5]
	v_mov_b32_e32 v2, v7
	v_mad_u64_u32 v[8:9], s[8:9], s13, v8, v[2:3]
	v_mov_b32_e32 v7, v8
	v_mul_lo_u32 v2, s3, v10
	v_lshl_add_u64 v[6:7], v[6:7], 3, s[0:1]
	v_lshl_add_u64 v[6:7], v[2:3], 3, v[6:7]
	v_add_u16_e32 v2, 0x5be, v0
	v_mul_u32_u24_e32 v8, 0x5f9, v2
	v_lshrrev_b32_e32 v27, 19, v8
	v_mul_lo_u16_e32 v8, 0x157, v27
	v_sub_u16_e32 v28, v2, v8
	v_mad_u64_u32 v[8:9], s[8:9], s12, v28, 0
	v_mov_b32_e32 v2, v9
	v_mad_u64_u32 v[10:11], s[8:9], s13, v28, v[2:3]
	v_mov_b32_e32 v9, v10
	global_load_dwordx2 v[20:21], v[4:5], off
	v_mul_lo_u32 v2, s3, v27
	global_load_dwordx2 v[6:7], v[6:7], off
	v_lshl_add_u64 v[4:5], v[8:9], 3, s[0:1]
	v_lshl_add_u64 v[4:5], v[2:3], 3, v[4:5]
	global_load_dwordx2 v[8:9], v[4:5], off
	v_mul_lo_u16_e32 v5, 5, v0
	v_lshl_add_u32 v5, v5, 3, 0
	v_mul_u32_u24_e32 v2, 0x3334, v0
	v_lshrrev_b32_e32 v2, 16, v2
	v_mul_lo_u16_e32 v4, 5, v2
	v_sub_u16_e32 v4, v0, v4
	s_load_dwordx4 s[0:3], s[18:19], 0x0
	s_waitcnt lgkmcnt(0)
	s_load_dword s3, s[18:19], 0x10
	s_mov_b32 s18, 0x3d64c772
	s_movk_i32 s8, 0xf0
	s_mov_b32 s19, 0x3f4a47b2
	s_mov_b32 s26, s23
	;; [unrolled: 1-line block ×7, first 2 shown]
	s_mul_i32 s14, s14, s28
	v_mul_u32_u24_e32 v0, 0x10c, v0
	v_mul_lo_u16_sdwa v0, v0, s25 dst_sel:DWORD dst_unused:UNUSED_PAD src0_sel:WORD_1 src1_sel:DWORD
	s_waitcnt vmcnt(6)
	ds_write_b64 v5, v[12:13]
	s_waitcnt vmcnt(5)
	ds_write_b64 v1, v[14:15]
	v_pk_mad_u16 v1, v24, 5, v23 op_sel_hi:[1,0,1]
	s_nop 0
	v_and_b32_e32 v5, 0xffff, v1
	v_bfe_u32 v1, v1, 16, 16
	v_lshl_add_u32 v5, v5, 3, 0
	v_lshl_add_u32 v1, v1, 3, 0
	s_waitcnt vmcnt(4)
	ds_write_b64 v5, v[16:17]
	s_waitcnt vmcnt(3)
	ds_write_b64 v1, v[18:19]
	v_pk_mad_u16 v1, v26, 5, v25 op_sel_hi:[1,0,1]
	s_nop 0
	v_and_b32_e32 v5, 0xffff, v1
	v_bfe_u32 v1, v1, 16, 16
	v_lshl_add_u32 v5, v5, 3, 0
	v_lshl_add_u32 v1, v1, 3, 0
	s_waitcnt vmcnt(2)
	ds_write_b64 v5, v[20:21]
	v_lshlrev_b32_e32 v5, 3, v4
	s_waitcnt vmcnt(1)
	ds_write_b64 v1, v[6:7]
	v_mad_legacy_u16 v1, v28, 5, v27
	v_lshl_add_u32 v1, v1, 3, 0
	s_waitcnt vmcnt(0)
	ds_write_b64 v1, v[8:9]
	v_mul_u32_u24_e32 v1, 40, v2
	v_add3_u32 v1, 0, v1, v5
	v_add_u32_e32 v48, 0xf00, v1
	v_add_u32_e32 v49, 0x1e80, v1
	s_waitcnt lgkmcnt(0)
	s_barrier
	ds_read2_b64 v[6:9], v1 offset1:245
	ds_read2_b64 v[10:13], v48 offset0:10 offset1:255
	ds_read_b64 v[18:19], v1 offset:11760
	ds_read2_b64 v[14:17], v49 offset0:4 offset1:249
	v_mad_u32_u24 v34, v2, s8, v1
	s_mov_b32 s8, 0xbee1c552
	s_waitcnt lgkmcnt(0)
	v_pk_add_f32 v[20:21], v[8:9], v[18:19]
	v_pk_add_f32 v[22:23], v[8:9], v[18:19] neg_lo:[0,1] neg_hi:[0,1]
	v_pk_add_f32 v[24:25], v[10:11], v[16:17]
	v_pk_add_f32 v[26:27], v[10:11], v[16:17] neg_lo:[0,1] neg_hi:[0,1]
	v_mov_b32_e32 v10, v12
	v_mov_b32_e32 v16, v14
	;; [unrolled: 1-line block ×4, first 2 shown]
	v_pk_add_f32 v[10:11], v[10:11], v[16:17]
	v_pk_add_f32 v[8:9], v[8:9], v[18:19]
	v_pk_add_f32 v[12:13], v[14:15], v[12:13] neg_lo:[0,1] neg_hi:[0,1]
	v_mov_b32_e32 v25, v11
	v_mov_b32_e32 v20, v8
	;; [unrolled: 1-line block ×6, first 2 shown]
	v_pk_add_f32 v[14:15], v[24:25], v[20:21]
	v_pk_add_f32 v[16:17], v[16:17], v[18:19] neg_lo:[0,1] neg_hi:[0,1]
	v_pk_add_f32 v[18:19], v[8:9], v[10:11] neg_lo:[0,1] neg_hi:[0,1]
	v_mov_b32_e32 v30, v13
	v_mov_b32_e32 v31, v22
	;; [unrolled: 1-line block ×5, first 2 shown]
	v_pk_add_f32 v[28:29], v[12:13], v[26:27]
	v_pk_add_f32 v[30:31], v[30:31], v[32:33] neg_lo:[0,1] neg_hi:[0,1]
	v_mov_b32_e32 v32, v23
	v_mov_b32_e32 v12, v13
	;; [unrolled: 1-line block ×3, first 2 shown]
	v_pk_add_f32 v[8:9], v[10:11], v[14:15]
	v_pk_add_f32 v[12:13], v[32:33], v[12:13] neg_lo:[0,1] neg_hi:[0,1]
	v_pk_add_f32 v[10:11], v[28:29], v[22:23]
	v_pk_add_f32 v[6:7], v[8:9], v[6:7]
	v_pk_mul_f32 v[14:15], v[16:17], s[18:19]
	v_pk_mul_f32 v[30:31], v[30:31], s[26:27]
	;; [unrolled: 1-line block ×3, first 2 shown]
	v_pk_mul_f32 v[28:29], v[10:11], s[8:9] op_sel_hi:[1,0]
	v_pk_mul_f32 v[32:33], v[12:13], s[22:23]
	v_pk_fma_f32 v[8:9], v[8:9], s[12:13], v[6:7] op_sel_hi:[1,0,1] neg_lo:[1,0,0] neg_hi:[1,0,0]
	v_pk_fma_f32 v[18:19], v[18:19], s[20:21], v[14:15]
	v_pk_fma_f32 v[12:13], v[12:13], s[22:23], v[30:31]
	v_pk_add_f32 v[18:19], v[18:19], v[8:9]
	v_pk_add_f32 v[12:13], v[28:29], v[12:13] op_sel:[1,0] op_sel_hi:[0,1]
	v_pk_add_f32 v[28:29], v[18:19], v[12:13]
	v_pk_add_f32 v[12:13], v[18:19], v[12:13] neg_lo:[0,1] neg_hi:[0,1]
	v_mov_b32_e32 v18, v28
	v_mov_b32_e32 v19, v13
	s_barrier
	ds_write2_b64 v34, v[6:7], v[18:19] offset1:5
	v_pk_add_f32 v[6:7], v[24:25], v[20:21] neg_lo:[0,1] neg_hi:[0,1]
	v_mov_b32_e32 v20, v16
	v_mov_b32_e32 v21, v15
	;; [unrolled: 1-line block ×3, first 2 shown]
	v_pk_add_f32 v[18:19], v[26:27], v[22:23] neg_lo:[0,1] neg_hi:[0,1]
	v_pk_fma_f32 v[20:21], v[6:7], s[24:25], v[20:21] op_sel_hi:[1,0,1] neg_lo:[1,0,1] neg_hi:[1,0,1]
	v_mov_b32_e32 v22, v31
	v_mov_b32_e32 v23, v32
	v_pk_fma_f32 v[6:7], v[6:7], s[24:25], v[14:15] op_sel_hi:[1,0,1] neg_lo:[0,0,1] neg_hi:[0,0,1]
	v_mov_b32_e32 v14, v33
	v_mov_b32_e32 v15, v30
	v_pk_fma_f32 v[22:23], v[18:19], s[16:17], v[22:23] op_sel_hi:[1,0,1] neg_lo:[1,0,1] neg_hi:[1,0,1]
	v_pk_fma_f32 v[14:15], v[18:19], s[16:17], v[14:15] op_sel_hi:[1,0,1] neg_lo:[0,0,1] neg_hi:[0,0,1]
	v_pk_add_f32 v[20:21], v[20:21], v[8:9]
	v_pk_fma_f32 v[22:23], v[10:11], s[8:9], v[22:23] op_sel_hi:[1,0,1]
	v_pk_add_f32 v[6:7], v[6:7], v[8:9]
	v_pk_fma_f32 v[8:9], v[10:11], s[8:9], v[14:15] op_sel_hi:[1,0,1]
	v_pk_add_f32 v[24:25], v[20:21], v[22:23] op_sel:[0,1] op_sel_hi:[1,0]
	v_pk_add_f32 v[20:21], v[20:21], v[22:23] op_sel:[0,1] op_sel_hi:[1,0] neg_lo:[0,1] neg_hi:[0,1]
	v_pk_add_f32 v[10:11], v[6:7], v[8:9] op_sel:[0,1] op_sel_hi:[1,0] neg_lo:[0,1] neg_hi:[0,1]
	v_pk_add_f32 v[6:7], v[6:7], v[8:9] op_sel:[0,1] op_sel_hi:[1,0]
	v_mov_b32_e32 v23, v21
	v_mov_b32_e32 v9, v7
	;; [unrolled: 1-line block ×6, first 2 shown]
	ds_write2_b64 v34, v[6:7], v[20:21] offset0:20 offset1:25
	v_mov_b32_e32 v13, v29
	v_mul_lo_u16_e32 v6, 37, v2
	ds_write2_b64 v34, v[22:23], v[8:9] offset0:10 offset1:15
	ds_write_b64 v34, v[12:13] offset:240
	v_lshrrev_b16_e32 v34, 8, v6
	v_mul_lo_u16_e32 v6, 7, v34
	v_sub_u16_e32 v6, v2, v6
	v_and_b32_e32 v36, 0xff, v6
	v_mul_u32_u24_e32 v6, 6, v36
	v_lshlrev_b32_e32 v18, 3, v6
	s_waitcnt lgkmcnt(0)
	s_barrier
	global_load_dwordx4 v[6:9], v18, s[4:5] offset:16
	global_load_dwordx4 v[10:13], v18, s[4:5] offset:32
	global_load_dwordx4 v[14:17], v18, s[4:5]
	ds_read2_b64 v[18:21], v1 offset1:245
	ds_read2_b64 v[22:25], v48 offset0:10 offset1:255
	ds_read2_b64 v[26:29], v49 offset0:4 offset1:249
	ds_read_b64 v[30:31], v1 offset:11760
	v_mad_u32_u24 v34, v34, 49, v36
	s_waitcnt lgkmcnt(3)
	v_mov_b32_e32 v38, v21
	s_waitcnt lgkmcnt(2)
	v_mov_b32_e32 v46, v25
	v_mov_b32_e32 v47, v22
	;; [unrolled: 1-line block ×7, first 2 shown]
	v_mul_u32_u24_e32 v34, 40, v34
	v_add3_u32 v5, 0, v34, v5
	s_waitcnt lgkmcnt(0)
	s_barrier
	s_waitcnt vmcnt(2)
	v_mov_b32_e32 v42, v6
	s_waitcnt vmcnt(1)
	v_mul_f32_e32 v37, v11, v29
	s_waitcnt vmcnt(0)
	v_mul_f32_e32 v35, v17, v23
	v_fmac_f32_e32 v35, v16, v22
	v_mov_b32_e32 v43, v16
	v_mov_b32_e32 v16, v7
	v_pk_mul_f32 v[16:17], v[16:17], v[46:47]
	v_mul_f32_e32 v20, v15, v20
	v_pk_fma_f32 v[22:23], v[6:7], v[24:25], v[16:17] op_sel_hi:[1,0,1]
	v_mov_b32_e32 v25, v6
	v_mov_b32_e32 v6, v15
	;; [unrolled: 1-line block ×3, first 2 shown]
	v_pk_mul_f32 v[6:7], v[6:7], v[38:39]
	v_mov_b32_e32 v33, v10
	v_fma_f32 v20, v14, v21, -v20
	v_pk_fma_f32 v[16:17], v[42:43], v[44:45], v[16:17] neg_lo:[0,0,1] neg_hi:[0,0,1]
	v_pk_fma_f32 v[14:15], v[24:25], v[40:41], v[6:7]
	v_pk_fma_f32 v[6:7], v[24:25], v[40:41], v[6:7] neg_lo:[0,0,1] neg_hi:[0,0,1]
	v_fmac_f32_e32 v37, v10, v28
	v_mov_b32_e32 v39, v29
	v_mov_b32_e32 v40, v31
	;; [unrolled: 1-line block ×12, first 2 shown]
	v_pk_mul_f32 v[10:11], v[10:11], v[42:43]
	v_mov_b32_e32 v28, v12
	v_pk_mul_f32 v[8:9], v[8:9], v[40:41]
	v_pk_fma_f32 v[26:27], v[32:33], v[26:27], v[10:11] op_sel:[0,1,0]
	v_pk_fma_f32 v[10:11], v[32:33], v[38:39], v[10:11] neg_lo:[0,0,1] neg_hi:[0,0,1]
	v_pk_fma_f32 v[32:33], v[28:29], v[24:25], v[8:9]
	v_pk_fma_f32 v[8:9], v[28:29], v[24:25], v[8:9] neg_lo:[0,0,1] neg_hi:[0,0,1]
	v_mul_f32_e32 v6, v13, v30
	v_mov_b32_e32 v23, v17
	v_mov_b32_e32 v15, v7
	;; [unrolled: 1-line block ×4, first 2 shown]
	v_fma_f32 v12, v12, v31, -v6
	v_mov_b32_e32 v21, v14
	v_mov_b32_e32 v13, v32
	v_add_f32_e32 v25, v20, v12
	v_pk_add_f32 v[12:13], v[20:21], v[12:13] neg_lo:[0,1] neg_hi:[0,1]
	v_add_f32_e32 v6, v35, v37
	v_mov_b32_e32 v34, v17
	v_mov_b32_e32 v36, v11
	v_pk_add_f32 v[16:17], v[22:23], v[26:27]
	v_pk_add_f32 v[14:15], v[14:15], v[32:33]
	v_mov_b32_e32 v8, v9
	v_mov_b32_e32 v9, v26
	;; [unrolled: 1-line block ×4, first 2 shown]
	v_pk_add_f32 v[10:11], v[34:35], v[36:37] neg_lo:[0,1] neg_hi:[0,1]
	v_pk_add_f32 v[8:9], v[8:9], v[20:21] neg_lo:[0,1] neg_hi:[0,1]
	v_mov_b32_e32 v7, v17
	v_mov_b32_e32 v24, v14
	;; [unrolled: 1-line block ×6, first 2 shown]
	v_pk_add_f32 v[20:21], v[6:7], v[24:25]
	v_pk_add_f32 v[22:23], v[22:23], v[26:27] neg_lo:[0,1] neg_hi:[0,1]
	v_pk_add_f32 v[26:27], v[14:15], v[16:17] neg_lo:[0,1] neg_hi:[0,1]
	v_mov_b32_e32 v30, v8
	v_mov_b32_e32 v31, v13
	;; [unrolled: 1-line block ×5, first 2 shown]
	v_pk_add_f32 v[28:29], v[8:9], v[10:11]
	v_pk_add_f32 v[30:31], v[30:31], v[32:33] neg_lo:[0,1] neg_hi:[0,1]
	v_mov_b32_e32 v32, v12
	v_mov_b32_e32 v9, v11
	v_pk_add_f32 v[14:15], v[16:17], v[20:21]
	v_pk_add_f32 v[8:9], v[32:33], v[8:9] neg_lo:[0,1] neg_hi:[0,1]
	v_pk_add_f32 v[18:19], v[14:15], v[18:19]
	v_pk_mul_f32 v[20:21], v[22:23], s[18:19]
	v_pk_mul_f32 v[30:31], v[30:31], s[26:27]
	v_pk_add_f32 v[16:17], v[28:29], v[12:13]
	v_pk_mul_f32 v[22:23], v[26:27], s[20:21]
	v_pk_mul_f32 v[28:29], v[8:9], s[22:23]
	v_pk_fma_f32 v[14:15], v[14:15], s[12:13], v[18:19] op_sel_hi:[1,0,1] neg_lo:[1,0,0] neg_hi:[1,0,0]
	v_pk_fma_f32 v[26:27], v[26:27], s[20:21], v[20:21]
	v_pk_fma_f32 v[8:9], v[8:9], s[22:23], v[30:31]
	v_pk_add_f32 v[26:27], v[26:27], v[14:15]
	v_pk_fma_f32 v[8:9], v[16:17], s[8:9], v[8:9] op_sel_hi:[1,0,1]
	v_pk_add_f32 v[6:7], v[6:7], v[24:25] neg_lo:[0,1] neg_hi:[0,1]
	v_pk_add_f32 v[32:33], v[26:27], v[8:9]
	v_pk_add_f32 v[8:9], v[26:27], v[8:9] neg_lo:[0,1] neg_hi:[0,1]
	v_mov_b32_e32 v26, v32
	v_mov_b32_e32 v27, v9
	ds_write2_b64 v5, v[18:19], v[26:27] offset1:35
	v_pk_add_f32 v[10:11], v[10:11], v[12:13] neg_lo:[0,1] neg_hi:[0,1]
	v_mov_b32_e32 v12, v22
	v_mov_b32_e32 v13, v21
	;; [unrolled: 1-line block ×6, first 2 shown]
	v_pk_fma_f32 v[12:13], v[6:7], s[24:25], v[12:13] op_sel_hi:[1,0,1] neg_lo:[1,0,1] neg_hi:[1,0,1]
	v_pk_fma_f32 v[18:19], v[10:11], s[16:17], v[18:19] op_sel_hi:[1,0,1] neg_lo:[1,0,1] neg_hi:[1,0,1]
	;; [unrolled: 1-line block ×4, first 2 shown]
	v_pk_add_f32 v[12:13], v[12:13], v[14:15]
	v_pk_fma_f32 v[18:19], v[16:17], s[8:9], v[18:19] op_sel_hi:[1,0,1]
	v_pk_add_f32 v[6:7], v[6:7], v[14:15]
	v_pk_fma_f32 v[10:11], v[16:17], s[8:9], v[10:11] op_sel_hi:[1,0,1]
	v_pk_add_f32 v[24:25], v[12:13], v[18:19]
	v_pk_add_f32 v[12:13], v[12:13], v[18:19] neg_lo:[0,1] neg_hi:[0,1]
	v_pk_add_f32 v[14:15], v[6:7], v[10:11] neg_lo:[0,1] neg_hi:[0,1]
	v_pk_add_f32 v[6:7], v[6:7], v[10:11]
	v_mov_b32_e32 v18, v24
	v_mov_b32_e32 v19, v13
	;; [unrolled: 1-line block ×7, first 2 shown]
	ds_write2_b64 v5, v[18:19], v[10:11] offset0:70 offset1:105
	ds_write2_b64 v5, v[6:7], v[12:13] offset0:140 offset1:175
	ds_write_b64 v5, v[8:9] offset:1680
	v_mul_lo_u16_e32 v5, 21, v2
	v_lshrrev_b16_e32 v5, 10, v5
	v_mul_lo_u16_e32 v5, 49, v5
	v_sub_u16_e32 v2, v2, v5
	v_mov_b32_e32 v5, 6
	v_mul_u32_u24_sdwa v5, v2, v5 dst_sel:DWORD dst_unused:UNUSED_PAD src0_sel:BYTE_0 src1_sel:DWORD
	v_lshlrev_b32_e32 v5, 3, v5
	s_waitcnt lgkmcnt(0)
	s_barrier
	global_load_dwordx4 v[6:9], v5, s[4:5] offset:352
	global_load_dwordx4 v[10:13], v5, s[4:5] offset:368
	;; [unrolled: 1-line block ×3, first 2 shown]
	s_mul_i32 s4, s7, s3
	s_mov_b32 s7, s17
	v_mov_b32_e32 v5, v3
	v_lshl_add_u64 v[4:5], s[6:7], 0, v[4:5]
	v_mul_lo_u32 v34, v5, s0
	v_mul_lo_u32 v36, v4, s1
	v_mad_u64_u32 v[4:5], s[0:1], v4, s0, 0
	s_lshl_b64 s[0:1], s[14:15], 3
	s_mov_b32 s5, s17
	s_add_u32 s3, s10, s0
	s_addc_u32 s6, s11, s1
	s_lshl_b64 s[0:1], s[4:5], 3
	s_add_u32 s0, s3, s0
	v_add3_u32 v5, v5, v36, v34
	v_add_u32_sdwa v0, v2, v0 dst_sel:DWORD dst_unused:UNUSED_PAD src0_sel:BYTE_0 src1_sel:DWORD
	s_addc_u32 s1, s6, s1
	v_mul_lo_u32 v2, v0, s2
	v_lshl_add_u64 v[4:5], v[4:5], 3, s[0:1]
	s_mul_i32 s0, s2, 49
	ds_read2_b64 v[18:21], v1 offset1:245
	ds_read2_b64 v[22:25], v48 offset0:10 offset1:255
	ds_read2_b64 v[26:29], v49 offset0:4 offset1:249
	ds_read_b64 v[30:31], v1 offset:11760
	v_lshl_add_u64 v[36:37], v[2:3], 3, v[4:5]
	v_add_u32_e32 v2, s0, v2
	v_lshl_add_u64 v[38:39], v[2:3], 3, v[4:5]
	v_add_u32_e32 v2, s0, v2
	;; [unrolled: 2-line block ×5, first 2 shown]
	s_waitcnt lgkmcnt(2)
	v_mov_b32_e32 v54, v25
	v_mov_b32_e32 v55, v22
	v_lshl_add_u64 v[46:47], v[2:3], 3, v[4:5]
	v_add_u32_e32 v2, s0, v2
	v_lshl_add_u64 v[2:3], v[2:3], 3, v[4:5]
	v_mov_b32_e32 v4, v21
	v_mov_b32_e32 v5, v24
	;; [unrolled: 1-line block ×6, first 2 shown]
	s_waitcnt vmcnt(2)
	v_mov_b32_e32 v50, v6
	s_waitcnt vmcnt(1) lgkmcnt(1)
	v_mul_f32_e32 v35, v11, v29
	s_waitcnt vmcnt(0)
	v_mul_f32_e32 v1, v17, v23
	v_fmac_f32_e32 v1, v16, v22
	v_mov_b32_e32 v51, v16
	v_mov_b32_e32 v16, v7
	v_pk_mul_f32 v[16:17], v[16:17], v[54:55]
	v_mov_b32_e32 v33, v10
	v_pk_fma_f32 v[22:23], v[6:7], v[24:25], v[16:17] op_sel_hi:[1,0,1]
	v_mov_b32_e32 v25, v6
	v_mov_b32_e32 v6, v15
	v_pk_fma_f32 v[16:17], v[50:51], v[52:53], v[16:17] neg_lo:[0,0,1] neg_hi:[0,0,1]
	v_mov_b32_e32 v24, v14
	v_pk_mul_f32 v[4:5], v[6:7], v[4:5]
	v_fmac_f32_e32 v35, v10, v28
	v_mov_b32_e32 v10, v8
	v_mov_b32_e32 v50, v26
	;; [unrolled: 1-line block ×4, first 2 shown]
	v_pk_fma_f32 v[6:7], v[24:25], v[48:49], v[4:5]
	v_pk_fma_f32 v[4:5], v[24:25], v[48:49], v[4:5] neg_lo:[0,0,1] neg_hi:[0,0,1]
	v_mov_b32_e32 v24, v27
	v_mov_b32_e32 v25, v29
	v_pk_mul_f32 v[10:11], v[10:11], v[50:51]
	v_mul_f32_e32 v0, v15, v20
	v_mov_b32_e32 v15, v27
	s_waitcnt lgkmcnt(0)
	v_mov_b32_e32 v48, v31
	v_mov_b32_e32 v49, v26
	v_pk_fma_f32 v[26:27], v[32:33], v[26:27], v[10:11] op_sel:[0,1,0]
	v_pk_fma_f32 v[10:11], v[32:33], v[24:25], v[10:11] neg_lo:[0,0,1] neg_hi:[0,0,1]
	v_mov_b32_e32 v25, v8
	v_mov_b32_e32 v8, v13
	v_fma_f32 v20, v14, v21, -v0
	v_mov_b32_e32 v14, v30
	v_mov_b32_e32 v24, v12
	v_pk_mul_f32 v[8:9], v[8:9], v[48:49]
	v_mul_f32_e32 v0, v13, v30
	v_pk_fma_f32 v[28:29], v[24:25], v[14:15], v[8:9]
	v_pk_fma_f32 v[8:9], v[24:25], v[14:15], v[8:9] neg_lo:[0,0,1] neg_hi:[0,0,1]
	v_mov_b32_e32 v23, v17
	v_mov_b32_e32 v7, v5
	;; [unrolled: 1-line block ×4, first 2 shown]
	v_fma_f32 v12, v12, v31, -v0
	v_add_f32_e32 v15, v20, v12
	v_mov_b32_e32 v21, v6
	v_mov_b32_e32 v13, v28
	v_add_f32_e32 v4, v1, v35
	v_mov_b32_e32 v0, v17
	v_mov_b32_e32 v34, v11
	v_pk_add_f32 v[10:11], v[22:23], v[26:27]
	v_pk_add_f32 v[6:7], v[6:7], v[28:29]
	v_mov_b32_e32 v8, v9
	v_mov_b32_e32 v9, v26
	;; [unrolled: 1-line block ×4, first 2 shown]
	v_pk_add_f32 v[12:13], v[20:21], v[12:13] neg_lo:[0,1] neg_hi:[0,1]
	v_pk_add_f32 v[0:1], v[0:1], v[34:35] neg_lo:[0,1] neg_hi:[0,1]
	;; [unrolled: 1-line block ×3, first 2 shown]
	v_mov_b32_e32 v5, v11
	v_mov_b32_e32 v14, v6
	;; [unrolled: 1-line block ×6, first 2 shown]
	v_pk_add_f32 v[16:17], v[4:5], v[14:15]
	v_pk_add_f32 v[20:21], v[20:21], v[22:23] neg_lo:[0,1] neg_hi:[0,1]
	v_pk_add_f32 v[22:23], v[6:7], v[10:11] neg_lo:[0,1] neg_hi:[0,1]
	v_mov_b32_e32 v26, v8
	v_mov_b32_e32 v27, v13
	;; [unrolled: 1-line block ×5, first 2 shown]
	v_pk_add_f32 v[24:25], v[8:9], v[0:1]
	v_pk_add_f32 v[26:27], v[26:27], v[28:29] neg_lo:[0,1] neg_hi:[0,1]
	v_mov_b32_e32 v28, v12
	v_mov_b32_e32 v9, v1
	v_pk_add_f32 v[6:7], v[10:11], v[16:17]
	v_pk_add_f32 v[8:9], v[28:29], v[8:9] neg_lo:[0,1] neg_hi:[0,1]
	v_pk_add_f32 v[16:17], v[6:7], v[18:19]
	v_pk_mul_f32 v[18:19], v[20:21], s[18:19]
	v_pk_mul_f32 v[26:27], v[26:27], s[26:27]
	v_pk_add_f32 v[10:11], v[24:25], v[12:13]
	v_pk_mul_f32 v[20:21], v[22:23], s[20:21]
	v_pk_mul_f32 v[24:25], v[8:9], s[22:23]
	v_pk_fma_f32 v[6:7], v[6:7], s[12:13], v[16:17] op_sel_hi:[1,0,1] neg_lo:[1,0,0] neg_hi:[1,0,0]
	v_pk_fma_f32 v[22:23], v[22:23], s[20:21], v[18:19]
	v_pk_fma_f32 v[8:9], v[8:9], s[22:23], v[26:27]
	v_pk_add_f32 v[22:23], v[22:23], v[6:7]
	v_pk_fma_f32 v[8:9], v[10:11], s[8:9], v[8:9] op_sel_hi:[1,0,1]
	v_pk_add_f32 v[4:5], v[4:5], v[14:15] neg_lo:[0,1] neg_hi:[0,1]
	v_pk_add_f32 v[0:1], v[0:1], v[12:13] neg_lo:[0,1] neg_hi:[0,1]
	v_mov_b32_e32 v12, v20
	v_mov_b32_e32 v13, v19
	;; [unrolled: 1-line block ×6, first 2 shown]
	v_pk_add_f32 v[28:29], v[22:23], v[8:9] neg_lo:[0,1] neg_hi:[0,1]
	v_pk_add_f32 v[8:9], v[22:23], v[8:9]
	v_pk_fma_f32 v[12:13], v[4:5], s[24:25], v[12:13] op_sel_hi:[1,0,1] neg_lo:[1,0,1] neg_hi:[1,0,1]
	v_pk_fma_f32 v[14:15], v[0:1], s[16:17], v[14:15] op_sel_hi:[1,0,1] neg_lo:[1,0,1] neg_hi:[1,0,1]
	v_pk_fma_f32 v[4:5], v[4:5], s[24:25], v[18:19] op_sel_hi:[1,0,1] neg_lo:[0,0,1] neg_hi:[0,0,1]
	v_pk_fma_f32 v[0:1], v[0:1], s[16:17], v[26:27] op_sel_hi:[1,0,1] neg_lo:[0,0,1] neg_hi:[0,0,1]
	global_store_dwordx2 v[36:37], v[16:17], off
	v_mov_b32_e32 v16, v8
	v_mov_b32_e32 v17, v29
	v_pk_add_f32 v[12:13], v[12:13], v[6:7]
	v_pk_fma_f32 v[14:15], v[10:11], s[8:9], v[14:15] op_sel_hi:[1,0,1]
	v_pk_add_f32 v[4:5], v[4:5], v[6:7]
	v_pk_fma_f32 v[0:1], v[10:11], s[8:9], v[0:1] op_sel_hi:[1,0,1]
	global_store_dwordx2 v[38:39], v[16:17], off
	v_pk_add_f32 v[16:17], v[12:13], v[14:15] neg_lo:[0,1] neg_hi:[0,1]
	v_pk_add_f32 v[12:13], v[12:13], v[14:15]
	v_pk_add_f32 v[6:7], v[4:5], v[0:1]
	v_pk_add_f32 v[0:1], v[4:5], v[0:1] neg_lo:[0,1] neg_hi:[0,1]
	v_mov_b32_e32 v14, v12
	v_mov_b32_e32 v15, v17
	;; [unrolled: 1-line block ×7, first 2 shown]
	global_store_dwordx2 v[40:41], v[14:15], off
	global_store_dwordx2 v[42:43], v[4:5], off
	;; [unrolled: 1-line block ×5, first 2 shown]
	s_endpgm
	.section	.rodata,"a",@progbits
	.p2align	6, 0x0
	.amdhsa_kernel fft_rtc_back_len343_factors_7_7_7_wgs_245_tpt_49_sp_op_CI_CI_sbrc_xy_z_diag_dirReg
		.amdhsa_group_segment_fixed_size 0
		.amdhsa_private_segment_fixed_size 0
		.amdhsa_kernarg_size 104
		.amdhsa_user_sgpr_count 2
		.amdhsa_user_sgpr_dispatch_ptr 0
		.amdhsa_user_sgpr_queue_ptr 0
		.amdhsa_user_sgpr_kernarg_segment_ptr 1
		.amdhsa_user_sgpr_dispatch_id 0
		.amdhsa_user_sgpr_kernarg_preload_length 0
		.amdhsa_user_sgpr_kernarg_preload_offset 0
		.amdhsa_user_sgpr_private_segment_size 0
		.amdhsa_uses_dynamic_stack 0
		.amdhsa_enable_private_segment 0
		.amdhsa_system_sgpr_workgroup_id_x 1
		.amdhsa_system_sgpr_workgroup_id_y 0
		.amdhsa_system_sgpr_workgroup_id_z 0
		.amdhsa_system_sgpr_workgroup_info 0
		.amdhsa_system_vgpr_workitem_id 0
		.amdhsa_next_free_vgpr 56
		.amdhsa_next_free_sgpr 29
		.amdhsa_accum_offset 56
		.amdhsa_reserve_vcc 0
		.amdhsa_float_round_mode_32 0
		.amdhsa_float_round_mode_16_64 0
		.amdhsa_float_denorm_mode_32 3
		.amdhsa_float_denorm_mode_16_64 3
		.amdhsa_dx10_clamp 1
		.amdhsa_ieee_mode 1
		.amdhsa_fp16_overflow 0
		.amdhsa_tg_split 0
		.amdhsa_exception_fp_ieee_invalid_op 0
		.amdhsa_exception_fp_denorm_src 0
		.amdhsa_exception_fp_ieee_div_zero 0
		.amdhsa_exception_fp_ieee_overflow 0
		.amdhsa_exception_fp_ieee_underflow 0
		.amdhsa_exception_fp_ieee_inexact 0
		.amdhsa_exception_int_div_zero 0
	.end_amdhsa_kernel
	.text
.Lfunc_end0:
	.size	fft_rtc_back_len343_factors_7_7_7_wgs_245_tpt_49_sp_op_CI_CI_sbrc_xy_z_diag_dirReg, .Lfunc_end0-fft_rtc_back_len343_factors_7_7_7_wgs_245_tpt_49_sp_op_CI_CI_sbrc_xy_z_diag_dirReg
                                        ; -- End function
	.section	.AMDGPU.csdata,"",@progbits
; Kernel info:
; codeLenInByte = 3920
; NumSgprs: 35
; NumVgprs: 56
; NumAgprs: 0
; TotalNumVgprs: 56
; ScratchSize: 0
; MemoryBound: 0
; FloatMode: 240
; IeeeMode: 1
; LDSByteSize: 0 bytes/workgroup (compile time only)
; SGPRBlocks: 4
; VGPRBlocks: 6
; NumSGPRsForWavesPerEU: 35
; NumVGPRsForWavesPerEU: 56
; AccumOffset: 56
; Occupancy: 8
; WaveLimiterHint : 1
; COMPUTE_PGM_RSRC2:SCRATCH_EN: 0
; COMPUTE_PGM_RSRC2:USER_SGPR: 2
; COMPUTE_PGM_RSRC2:TRAP_HANDLER: 0
; COMPUTE_PGM_RSRC2:TGID_X_EN: 1
; COMPUTE_PGM_RSRC2:TGID_Y_EN: 0
; COMPUTE_PGM_RSRC2:TGID_Z_EN: 0
; COMPUTE_PGM_RSRC2:TIDIG_COMP_CNT: 0
; COMPUTE_PGM_RSRC3_GFX90A:ACCUM_OFFSET: 13
; COMPUTE_PGM_RSRC3_GFX90A:TG_SPLIT: 0
	.text
	.p2alignl 6, 3212836864
	.fill 256, 4, 3212836864
	.type	__hip_cuid_3e30d76b2185bb46,@object ; @__hip_cuid_3e30d76b2185bb46
	.section	.bss,"aw",@nobits
	.globl	__hip_cuid_3e30d76b2185bb46
__hip_cuid_3e30d76b2185bb46:
	.byte	0                               ; 0x0
	.size	__hip_cuid_3e30d76b2185bb46, 1

	.ident	"AMD clang version 19.0.0git (https://github.com/RadeonOpenCompute/llvm-project roc-6.4.0 25133 c7fe45cf4b819c5991fe208aaa96edf142730f1d)"
	.section	".note.GNU-stack","",@progbits
	.addrsig
	.addrsig_sym __hip_cuid_3e30d76b2185bb46
	.amdgpu_metadata
---
amdhsa.kernels:
  - .agpr_count:     0
    .args:
      - .actual_access:  read_only
        .address_space:  global
        .offset:         0
        .size:           8
        .value_kind:     global_buffer
      - .offset:         8
        .size:           8
        .value_kind:     by_value
      - .actual_access:  read_only
        .address_space:  global
        .offset:         16
        .size:           8
        .value_kind:     global_buffer
      - .actual_access:  read_only
        .address_space:  global
        .offset:         24
        .size:           8
        .value_kind:     global_buffer
      - .actual_access:  read_only
        .address_space:  global
        .offset:         32
        .size:           8
        .value_kind:     global_buffer
      - .offset:         40
        .size:           8
        .value_kind:     by_value
      - .actual_access:  read_only
        .address_space:  global
        .offset:         48
        .size:           8
        .value_kind:     global_buffer
      - .actual_access:  read_only
        .address_space:  global
        .offset:         56
        .size:           8
        .value_kind:     global_buffer
      - .offset:         64
        .size:           4
        .value_kind:     by_value
      - .actual_access:  read_only
        .address_space:  global
        .offset:         72
        .size:           8
        .value_kind:     global_buffer
      - .actual_access:  read_only
        .address_space:  global
        .offset:         80
        .size:           8
        .value_kind:     global_buffer
      - .actual_access:  read_only
        .address_space:  global
        .offset:         88
        .size:           8
        .value_kind:     global_buffer
      - .actual_access:  write_only
        .address_space:  global
        .offset:         96
        .size:           8
        .value_kind:     global_buffer
    .group_segment_fixed_size: 0
    .kernarg_segment_align: 8
    .kernarg_segment_size: 104
    .language:       OpenCL C
    .language_version:
      - 2
      - 0
    .max_flat_workgroup_size: 245
    .name:           fft_rtc_back_len343_factors_7_7_7_wgs_245_tpt_49_sp_op_CI_CI_sbrc_xy_z_diag_dirReg
    .private_segment_fixed_size: 0
    .sgpr_count:     35
    .sgpr_spill_count: 0
    .symbol:         fft_rtc_back_len343_factors_7_7_7_wgs_245_tpt_49_sp_op_CI_CI_sbrc_xy_z_diag_dirReg.kd
    .uniform_work_group_size: 1
    .uses_dynamic_stack: false
    .vgpr_count:     56
    .vgpr_spill_count: 0
    .wavefront_size: 64
amdhsa.target:   amdgcn-amd-amdhsa--gfx950
amdhsa.version:
  - 1
  - 2
...

	.end_amdgpu_metadata
